;; amdgpu-corpus repo=ROCm/rocFFT kind=compiled arch=gfx906 opt=O3
	.text
	.amdgcn_target "amdgcn-amd-amdhsa--gfx906"
	.amdhsa_code_object_version 6
	.protected	fft_rtc_back_len1764_factors_2_2_3_3_7_7_wgs_126_tpt_126_halfLds_dp_ip_CI_unitstride_sbrr_dirReg ; -- Begin function fft_rtc_back_len1764_factors_2_2_3_3_7_7_wgs_126_tpt_126_halfLds_dp_ip_CI_unitstride_sbrr_dirReg
	.globl	fft_rtc_back_len1764_factors_2_2_3_3_7_7_wgs_126_tpt_126_halfLds_dp_ip_CI_unitstride_sbrr_dirReg
	.p2align	8
	.type	fft_rtc_back_len1764_factors_2_2_3_3_7_7_wgs_126_tpt_126_halfLds_dp_ip_CI_unitstride_sbrr_dirReg,@function
fft_rtc_back_len1764_factors_2_2_3_3_7_7_wgs_126_tpt_126_halfLds_dp_ip_CI_unitstride_sbrr_dirReg: ; @fft_rtc_back_len1764_factors_2_2_3_3_7_7_wgs_126_tpt_126_halfLds_dp_ip_CI_unitstride_sbrr_dirReg
; %bb.0:
	s_load_dwordx2 s[2:3], s[4:5], 0x50
	s_load_dwordx4 s[8:11], s[4:5], 0x0
	s_load_dwordx2 s[12:13], s[4:5], 0x18
	v_mul_u32_u24_e32 v1, 0x209, v0
	v_add_u32_sdwa v5, s6, v1 dst_sel:DWORD dst_unused:UNUSED_PAD src0_sel:DWORD src1_sel:WORD_1
	v_mov_b32_e32 v3, 0
	s_waitcnt lgkmcnt(0)
	v_cmp_lt_u64_e64 s[0:1], s[10:11], 2
	v_mov_b32_e32 v1, 0
	v_mov_b32_e32 v6, v3
	s_and_b64 vcc, exec, s[0:1]
	v_mov_b32_e32 v2, 0
	s_cbranch_vccnz .LBB0_8
; %bb.1:
	s_load_dwordx2 s[0:1], s[4:5], 0x10
	s_add_u32 s6, s12, 8
	s_addc_u32 s7, s13, 0
	v_mov_b32_e32 v1, 0
	v_mov_b32_e32 v2, 0
	s_waitcnt lgkmcnt(0)
	s_add_u32 s14, s0, 8
	s_addc_u32 s15, s1, 0
	s_mov_b64 s[16:17], 1
.LBB0_2:                                ; =>This Inner Loop Header: Depth=1
	s_load_dwordx2 s[18:19], s[14:15], 0x0
                                        ; implicit-def: $vgpr7_vgpr8
	s_waitcnt lgkmcnt(0)
	v_or_b32_e32 v4, s19, v6
	v_cmp_ne_u64_e32 vcc, 0, v[3:4]
	s_and_saveexec_b64 s[0:1], vcc
	s_xor_b64 s[20:21], exec, s[0:1]
	s_cbranch_execz .LBB0_4
; %bb.3:                                ;   in Loop: Header=BB0_2 Depth=1
	v_cvt_f32_u32_e32 v4, s18
	v_cvt_f32_u32_e32 v7, s19
	s_sub_u32 s0, 0, s18
	s_subb_u32 s1, 0, s19
	v_mac_f32_e32 v4, 0x4f800000, v7
	v_rcp_f32_e32 v4, v4
	v_mul_f32_e32 v4, 0x5f7ffffc, v4
	v_mul_f32_e32 v7, 0x2f800000, v4
	v_trunc_f32_e32 v7, v7
	v_mac_f32_e32 v4, 0xcf800000, v7
	v_cvt_u32_f32_e32 v7, v7
	v_cvt_u32_f32_e32 v4, v4
	v_mul_lo_u32 v8, s0, v7
	v_mul_hi_u32 v9, s0, v4
	v_mul_lo_u32 v11, s1, v4
	v_mul_lo_u32 v10, s0, v4
	v_add_u32_e32 v8, v9, v8
	v_add_u32_e32 v8, v8, v11
	v_mul_hi_u32 v9, v4, v10
	v_mul_lo_u32 v11, v4, v8
	v_mul_hi_u32 v13, v4, v8
	v_mul_hi_u32 v12, v7, v10
	v_mul_lo_u32 v10, v7, v10
	v_mul_hi_u32 v14, v7, v8
	v_add_co_u32_e32 v9, vcc, v9, v11
	v_addc_co_u32_e32 v11, vcc, 0, v13, vcc
	v_mul_lo_u32 v8, v7, v8
	v_add_co_u32_e32 v9, vcc, v9, v10
	v_addc_co_u32_e32 v9, vcc, v11, v12, vcc
	v_addc_co_u32_e32 v10, vcc, 0, v14, vcc
	v_add_co_u32_e32 v8, vcc, v9, v8
	v_addc_co_u32_e32 v9, vcc, 0, v10, vcc
	v_add_co_u32_e32 v4, vcc, v4, v8
	v_addc_co_u32_e32 v7, vcc, v7, v9, vcc
	v_mul_lo_u32 v8, s0, v7
	v_mul_hi_u32 v9, s0, v4
	v_mul_lo_u32 v10, s1, v4
	v_mul_lo_u32 v11, s0, v4
	v_add_u32_e32 v8, v9, v8
	v_add_u32_e32 v8, v8, v10
	v_mul_lo_u32 v12, v4, v8
	v_mul_hi_u32 v13, v4, v11
	v_mul_hi_u32 v14, v4, v8
	;; [unrolled: 1-line block ×3, first 2 shown]
	v_mul_lo_u32 v11, v7, v11
	v_mul_hi_u32 v9, v7, v8
	v_add_co_u32_e32 v12, vcc, v13, v12
	v_addc_co_u32_e32 v13, vcc, 0, v14, vcc
	v_mul_lo_u32 v8, v7, v8
	v_add_co_u32_e32 v11, vcc, v12, v11
	v_addc_co_u32_e32 v10, vcc, v13, v10, vcc
	v_addc_co_u32_e32 v9, vcc, 0, v9, vcc
	v_add_co_u32_e32 v8, vcc, v10, v8
	v_addc_co_u32_e32 v9, vcc, 0, v9, vcc
	v_add_co_u32_e32 v4, vcc, v4, v8
	v_addc_co_u32_e32 v9, vcc, v7, v9, vcc
	v_mad_u64_u32 v[7:8], s[0:1], v5, v9, 0
	v_mul_hi_u32 v10, v5, v4
	v_add_co_u32_e32 v11, vcc, v10, v7
	v_addc_co_u32_e32 v12, vcc, 0, v8, vcc
	v_mad_u64_u32 v[7:8], s[0:1], v6, v4, 0
	v_mad_u64_u32 v[9:10], s[0:1], v6, v9, 0
	v_add_co_u32_e32 v4, vcc, v11, v7
	v_addc_co_u32_e32 v4, vcc, v12, v8, vcc
	v_addc_co_u32_e32 v7, vcc, 0, v10, vcc
	v_add_co_u32_e32 v4, vcc, v4, v9
	v_addc_co_u32_e32 v9, vcc, 0, v7, vcc
	v_mul_lo_u32 v10, s19, v4
	v_mul_lo_u32 v11, s18, v9
	v_mad_u64_u32 v[7:8], s[0:1], s18, v4, 0
	v_add3_u32 v8, v8, v11, v10
	v_sub_u32_e32 v10, v6, v8
	v_mov_b32_e32 v11, s19
	v_sub_co_u32_e32 v7, vcc, v5, v7
	v_subb_co_u32_e64 v10, s[0:1], v10, v11, vcc
	v_subrev_co_u32_e64 v11, s[0:1], s18, v7
	v_subbrev_co_u32_e64 v10, s[0:1], 0, v10, s[0:1]
	v_cmp_le_u32_e64 s[0:1], s19, v10
	v_cndmask_b32_e64 v12, 0, -1, s[0:1]
	v_cmp_le_u32_e64 s[0:1], s18, v11
	v_cndmask_b32_e64 v11, 0, -1, s[0:1]
	v_cmp_eq_u32_e64 s[0:1], s19, v10
	v_cndmask_b32_e64 v10, v12, v11, s[0:1]
	v_add_co_u32_e64 v11, s[0:1], 2, v4
	v_addc_co_u32_e64 v12, s[0:1], 0, v9, s[0:1]
	v_add_co_u32_e64 v13, s[0:1], 1, v4
	v_addc_co_u32_e64 v14, s[0:1], 0, v9, s[0:1]
	v_subb_co_u32_e32 v8, vcc, v6, v8, vcc
	v_cmp_ne_u32_e64 s[0:1], 0, v10
	v_cmp_le_u32_e32 vcc, s19, v8
	v_cndmask_b32_e64 v10, v14, v12, s[0:1]
	v_cndmask_b32_e64 v12, 0, -1, vcc
	v_cmp_le_u32_e32 vcc, s18, v7
	v_cndmask_b32_e64 v7, 0, -1, vcc
	v_cmp_eq_u32_e32 vcc, s19, v8
	v_cndmask_b32_e32 v7, v12, v7, vcc
	v_cmp_ne_u32_e32 vcc, 0, v7
	v_cndmask_b32_e64 v7, v13, v11, s[0:1]
	v_cndmask_b32_e32 v8, v9, v10, vcc
	v_cndmask_b32_e32 v7, v4, v7, vcc
.LBB0_4:                                ;   in Loop: Header=BB0_2 Depth=1
	s_andn2_saveexec_b64 s[0:1], s[20:21]
	s_cbranch_execz .LBB0_6
; %bb.5:                                ;   in Loop: Header=BB0_2 Depth=1
	v_cvt_f32_u32_e32 v4, s18
	s_sub_i32 s20, 0, s18
	v_rcp_iflag_f32_e32 v4, v4
	v_mul_f32_e32 v4, 0x4f7ffffe, v4
	v_cvt_u32_f32_e32 v4, v4
	v_mul_lo_u32 v7, s20, v4
	v_mul_hi_u32 v7, v4, v7
	v_add_u32_e32 v4, v4, v7
	v_mul_hi_u32 v4, v5, v4
	v_mul_lo_u32 v7, v4, s18
	v_add_u32_e32 v8, 1, v4
	v_sub_u32_e32 v7, v5, v7
	v_subrev_u32_e32 v9, s18, v7
	v_cmp_le_u32_e32 vcc, s18, v7
	v_cndmask_b32_e32 v7, v7, v9, vcc
	v_cndmask_b32_e32 v4, v4, v8, vcc
	v_add_u32_e32 v8, 1, v4
	v_cmp_le_u32_e32 vcc, s18, v7
	v_cndmask_b32_e32 v7, v4, v8, vcc
	v_mov_b32_e32 v8, v3
.LBB0_6:                                ;   in Loop: Header=BB0_2 Depth=1
	s_or_b64 exec, exec, s[0:1]
	v_mul_lo_u32 v4, v8, s18
	v_mul_lo_u32 v11, v7, s19
	v_mad_u64_u32 v[9:10], s[0:1], v7, s18, 0
	s_load_dwordx2 s[0:1], s[6:7], 0x0
	s_add_u32 s16, s16, 1
	v_add3_u32 v4, v10, v11, v4
	v_sub_co_u32_e32 v5, vcc, v5, v9
	v_subb_co_u32_e32 v4, vcc, v6, v4, vcc
	s_waitcnt lgkmcnt(0)
	v_mul_lo_u32 v4, s0, v4
	v_mul_lo_u32 v6, s1, v5
	v_mad_u64_u32 v[1:2], s[0:1], s0, v5, v[1:2]
	s_addc_u32 s17, s17, 0
	s_add_u32 s6, s6, 8
	v_add3_u32 v2, v6, v2, v4
	v_mov_b32_e32 v4, s10
	v_mov_b32_e32 v5, s11
	s_addc_u32 s7, s7, 0
	v_cmp_ge_u64_e32 vcc, s[16:17], v[4:5]
	s_add_u32 s14, s14, 8
	s_addc_u32 s15, s15, 0
	s_cbranch_vccnz .LBB0_9
; %bb.7:                                ;   in Loop: Header=BB0_2 Depth=1
	v_mov_b32_e32 v5, v7
	v_mov_b32_e32 v6, v8
	s_branch .LBB0_2
.LBB0_8:
	v_mov_b32_e32 v8, v6
	v_mov_b32_e32 v7, v5
.LBB0_9:
	s_lshl_b64 s[0:1], s[10:11], 3
	s_add_u32 s0, s12, s0
	s_addc_u32 s1, s13, s1
	s_load_dwordx2 s[6:7], s[0:1], 0x0
	s_load_dwordx2 s[10:11], s[4:5], 0x20
                                        ; implicit-def: $vgpr22_vgpr23
                                        ; implicit-def: $vgpr10_vgpr11
                                        ; implicit-def: $vgpr34_vgpr35
                                        ; implicit-def: $vgpr14_vgpr15
                                        ; implicit-def: $vgpr38_vgpr39
                                        ; implicit-def: $vgpr18_vgpr19
                                        ; implicit-def: $vgpr42_vgpr43
                                        ; implicit-def: $vgpr30_vgpr31
                                        ; implicit-def: $vgpr46_vgpr47
                                        ; implicit-def: $vgpr26_vgpr27
                                        ; implicit-def: $vgpr50_vgpr51
                                        ; implicit-def: $vgpr54_vgpr55
	s_waitcnt lgkmcnt(0)
	v_mad_u64_u32 v[1:2], s[0:1], s6, v7, v[1:2]
	v_mul_lo_u32 v3, s6, v8
	v_mul_lo_u32 v4, s7, v7
	s_mov_b32 s0, 0x2082083
	v_mul_hi_u32 v5, v0, s0
	v_cmp_gt_u64_e64 s[0:1], s[10:11], v[7:8]
	v_add3_u32 v2, v4, v2, v3
	v_lshlrev_b64 v[74:75], 4, v[1:2]
	v_mul_u32_u24_e32 v3, 0x7e, v5
	v_sub_u32_e32 v72, v0, v3
                                        ; implicit-def: $vgpr2_vgpr3
                                        ; implicit-def: $vgpr6_vgpr7
	s_and_saveexec_b64 s[4:5], s[0:1]
	s_cbranch_execz .LBB0_11
; %bb.10:
	v_mov_b32_e32 v73, 0
	v_mov_b32_e32 v0, s3
	v_add_co_u32_e32 v2, vcc, s2, v74
	v_addc_co_u32_e32 v3, vcc, v0, v75, vcc
	v_lshlrev_b64 v[0:1], 4, v[72:73]
	s_movk_i32 s6, 0x3000
	v_add_co_u32_e32 v56, vcc, v2, v0
	v_addc_co_u32_e32 v57, vcc, v3, v1, vcc
	v_add_co_u32_e32 v58, vcc, s6, v56
	v_addc_co_u32_e32 v59, vcc, 0, v57, vcc
	s_movk_i32 s6, 0x4000
	v_add_co_u32_e32 v60, vcc, s6, v56
	v_addc_co_u32_e32 v61, vcc, 0, v57, vcc
	s_movk_i32 s6, 0x1000
	;; [unrolled: 3-line block ×4, first 2 shown]
	v_add_co_u32_e32 v66, vcc, s6, v56
	v_addc_co_u32_e32 v67, vcc, 0, v57, vcc
	v_add_co_u32_e32 v68, vcc, 0x6000, v56
	global_load_dwordx4 v[4:7], v[56:57], off
	global_load_dwordx4 v[0:3], v[56:57], off offset:2016
	v_addc_co_u32_e32 v69, vcc, 0, v57, vcc
	global_load_dwordx4 v[24:27], v[56:57], off offset:4032
	global_load_dwordx4 v[52:55], v[58:59], off offset:1824
	;; [unrolled: 1-line block ×12, first 2 shown]
.LBB0_11:
	s_or_b64 exec, exec, s[4:5]
	s_waitcnt vmcnt(10)
	v_add_f64 v[56:57], v[4:5], -v[52:53]
	s_waitcnt vmcnt(9)
	v_add_f64 v[60:61], v[0:1], -v[48:49]
	v_add_f64 v[66:67], v[6:7], -v[54:55]
	s_waitcnt vmcnt(8)
	v_add_f64 v[70:71], v[24:25], -v[44:45]
	s_waitcnt vmcnt(6)
	;; [unrolled: 2-line block ×4, first 2 shown]
	v_add_f64 v[82:83], v[12:13], -v[32:33]
	v_add_f64 v[32:33], v[30:31], -v[42:43]
	v_fma_f64 v[54:55], v[4:5], 2.0, -v[56:57]
	v_fma_f64 v[58:59], v[0:1], 2.0, -v[60:61]
	;; [unrolled: 1-line block ×3, first 2 shown]
	s_waitcnt vmcnt(0)
	v_add_f64 v[6:7], v[8:9], -v[20:21]
	v_fma_f64 v[68:69], v[24:25], 2.0, -v[70:71]
	v_add_f64 v[24:25], v[2:3], -v[50:51]
	v_fma_f64 v[76:77], v[28:29], 2.0, -v[78:79]
	v_add_f64 v[28:29], v[26:27], -v[46:47]
	v_lshl_add_u32 v40, v72, 4, 0
	v_add_u32_e32 v91, 0x7e, v72
	v_add_f64 v[20:21], v[18:19], -v[38:39]
	v_lshl_add_u32 v0, v91, 4, 0
	ds_write_b128 v40, v[54:57]
	ds_write_b128 v0, v[58:61]
	v_fma_f64 v[60:61], v[16:17], 2.0, -v[62:63]
	v_add_f64 v[16:17], v[14:15], -v[34:35]
	v_fma_f64 v[80:81], v[12:13], 2.0, -v[82:83]
	v_fma_f64 v[4:5], v[8:9], 2.0, -v[6:7]
	v_add_f64 v[12:13], v[10:11], -v[22:23]
	v_fma_f64 v[22:23], v[2:3], 2.0, -v[24:25]
	v_fma_f64 v[26:27], v[26:27], 2.0, -v[28:29]
	;; [unrolled: 1-line block ×3, first 2 shown]
	v_add_u32_e32 v99, 0x2f4, v72
	v_fma_f64 v[18:19], v[18:19], 2.0, -v[20:21]
	v_lshl_add_u32 v37, v99, 4, 0
	v_fma_f64 v[14:15], v[14:15], 2.0, -v[16:17]
	v_add_u32_e32 v94, 0xfc, v72
	v_add_u32_e32 v93, 0x17a, v72
	;; [unrolled: 1-line block ×4, first 2 shown]
	ds_write_b128 v37, v[4:7]
	v_lshlrev_b32_e32 v4, 3, v72
	v_fma_f64 v[10:11], v[10:11], 2.0, -v[12:13]
	v_lshl_add_u32 v1, v94, 4, 0
	v_lshl_add_u32 v36, v93, 4, 0
	;; [unrolled: 1-line block ×4, first 2 shown]
	v_sub_u32_e32 v73, v40, v4
	ds_write_b128 v1, v[68:71]
	ds_write_b128 v36, v[76:79]
	;; [unrolled: 1-line block ×4, first 2 shown]
	s_waitcnt lgkmcnt(0)
	s_barrier
	v_add_u32_e32 v41, 0x1400, v73
	v_add_u32_e32 v44, 0x1c00, v73
	;; [unrolled: 1-line block ×6, first 2 shown]
	ds_read2_b64 v[76:79], v73 offset1:126
	ds_read2_b64 v[60:63], v41 offset0:116 offset1:242
	ds_read2_b64 v[56:59], v44 offset0:112 offset1:238
	;; [unrolled: 1-line block ×6, first 2 shown]
	s_waitcnt lgkmcnt(0)
	s_barrier
	ds_write_b128 v40, v[64:67]
	ds_write_b128 v0, v[22:25]
	;; [unrolled: 1-line block ×7, first 2 shown]
	v_and_b32_e32 v30, 1, v72
	v_lshlrev_b32_e32 v0, 4, v30
	s_waitcnt lgkmcnt(0)
	s_barrier
	global_load_dwordx4 v[0:3], v0, s[8:9]
	ds_read2_b64 v[32:35], v41 offset0:116 offset1:242
	ds_read2_b64 v[48:51], v44 offset0:112 offset1:238
	v_lshlrev_b32_e32 v8, 1, v72
	s_movk_i32 s4, 0xfc
	s_movk_i32 s5, 0x1fc
	v_and_or_b32 v8, v8, s4, v30
	v_lshlrev_b32_e32 v9, 1, v91
	s_movk_i32 s6, 0x3fc
	v_lshlrev_b32_e32 v10, 1, v94
	v_lshl_add_u32 v83, v8, 3, 0
	v_and_or_b32 v14, v9, s5, v30
	v_and_or_b32 v15, v10, s6, v30
	ds_read2_b64 v[64:67], v81 offset0:108 offset1:234
	v_lshl_add_u32 v84, v14, 3, 0
	v_lshl_add_u32 v85, v15, 3, 0
	ds_read2_b64 v[36:39], v45 offset0:120 offset1:246
	ds_read2_b64 v[40:43], v73 offset1:126
	ds_read2_b64 v[44:47], v80 offset0:124 offset1:250
	ds_read2_b64 v[68:71], v82 offset0:104 offset1:230
	s_waitcnt vmcnt(0) lgkmcnt(0)
	s_barrier
	s_movk_i32 s4, 0x7fc
	s_movk_i32 s5, 0x5fc
	v_mul_f64 v[8:9], v[34:35], v[2:3]
	v_mul_f64 v[10:11], v[48:49], v[2:3]
	;; [unrolled: 1-line block ×7, first 2 shown]
	v_fma_f64 v[8:9], v[62:63], v[0:1], v[8:9]
	v_fma_f64 v[10:11], v[56:57], v[0:1], v[10:11]
	;; [unrolled: 1-line block ×7, first 2 shown]
	v_add_f64 v[8:9], v[76:77], -v[8:9]
	v_add_f64 v[10:11], v[78:79], -v[10:11]
	;; [unrolled: 1-line block ×5, first 2 shown]
	v_fma_f64 v[22:23], v[76:77], 2.0, -v[8:9]
	v_fma_f64 v[24:25], v[78:79], 2.0, -v[10:11]
	;; [unrolled: 1-line block ×3, first 2 shown]
	ds_write2_b64 v83, v[22:23], v[8:9] offset1:2
	ds_write2_b64 v84, v[24:25], v[10:11] offset1:2
	;; [unrolled: 1-line block ×3, first 2 shown]
	v_lshlrev_b32_e32 v8, 1, v93
	v_fma_f64 v[28:29], v[88:89], 2.0, -v[14:15]
	v_and_or_b32 v10, v8, s6, v30
	v_add_f64 v[8:9], v[97:98], -v[18:19]
	v_add_f64 v[76:77], v[60:61], -v[20:21]
	v_lshl_add_u32 v86, v10, 3, 0
	v_fma_f64 v[10:11], v[95:96], 2.0, -v[16:17]
	v_lshlrev_b32_e32 v12, 1, v92
	v_add_u32_e32 v95, 0x1000, v73
	ds_write2_b64 v86, v[28:29], v[14:15] offset1:2
	v_and_or_b32 v14, v12, s4, v30
	v_fma_f64 v[12:13], v[97:98], 2.0, -v[8:9]
	v_fma_f64 v[60:61], v[60:61], 2.0, -v[76:77]
	v_lshl_add_u32 v87, v14, 3, 0
	ds_write2_b64 v87, v[10:11], v[16:17] offset1:2
	v_lshlrev_b32_e32 v10, 1, v90
	v_and_or_b32 v10, v10, s5, v30
	v_lshl_add_u32 v88, v10, 3, 0
	v_add_u32_e32 v90, 0x1800, v73
	ds_write2_b64 v88, v[12:13], v[8:9] offset1:2
	v_lshlrev_b32_e32 v8, 1, v99
	v_and_or_b32 v8, v8, s4, v30
	v_lshl_add_u32 v89, v8, 3, 0
	ds_write2_b64 v89, v[60:61], v[76:77] offset1:2
	s_waitcnt lgkmcnt(0)
	s_barrier
	ds_read2_b64 v[12:15], v73 offset1:126
	ds_read2_b64 v[28:31], v95 offset0:76 offset1:202
	ds_read2_b64 v[24:27], v81 offset0:24 offset1:150
	;; [unrolled: 1-line block ×5, first 2 shown]
	s_movk_i32 s4, 0x54
	v_cmp_gt_u32_e32 vcc, s4, v72
                                        ; implicit-def: $vgpr78_vgpr79
	s_and_saveexec_b64 s[4:5], vcc
	s_cbranch_execz .LBB0_13
; %bb.12:
	ds_read_b64 v[60:61], v73 offset:4032
	ds_read_b64 v[76:77], v73 offset:8736
	;; [unrolled: 1-line block ×3, first 2 shown]
.LBB0_13:
	s_or_b64 exec, exec, s[4:5]
	v_mul_f64 v[62:63], v[62:63], v[2:3]
	v_mul_f64 v[56:57], v[56:57], v[2:3]
	;; [unrolled: 1-line block ×7, first 2 shown]
	s_waitcnt lgkmcnt(0)
	v_fma_f64 v[6:7], v[34:35], v[0:1], -v[62:63]
	v_fma_f64 v[34:35], v[48:49], v[0:1], -v[56:57]
	;; [unrolled: 1-line block ×7, first 2 shown]
	s_barrier
	v_add_f64 v[2:3], v[40:41], -v[6:7]
	v_add_f64 v[6:7], v[42:43], -v[34:35]
	;; [unrolled: 1-line block ×7, first 2 shown]
	v_fma_f64 v[0:1], v[40:41], 2.0, -v[2:3]
	v_fma_f64 v[40:41], v[42:43], 2.0, -v[6:7]
	;; [unrolled: 1-line block ×7, first 2 shown]
	ds_write2_b64 v83, v[0:1], v[2:3] offset1:2
	ds_write2_b64 v84, v[40:41], v[6:7] offset1:2
	;; [unrolled: 1-line block ×7, first 2 shown]
	s_waitcnt lgkmcnt(0)
	s_barrier
	ds_read2_b64 v[4:7], v73 offset1:126
	ds_read2_b64 v[44:47], v95 offset0:76 offset1:202
	ds_read2_b64 v[40:43], v81 offset0:24 offset1:150
	;; [unrolled: 1-line block ×5, first 2 shown]
                                        ; implicit-def: $vgpr52_vgpr53
	s_and_saveexec_b64 s[4:5], vcc
	s_cbranch_execz .LBB0_15
; %bb.14:
	ds_read_b64 v[50:51], v73 offset:4032
	ds_read_b64 v[48:49], v73 offset:8736
	;; [unrolled: 1-line block ×3, first 2 shown]
.LBB0_15:
	s_or_b64 exec, exec, s[4:5]
	v_and_b32_e32 v95, 3, v72
	v_lshlrev_b32_e32 v58, 5, v95
	global_load_dwordx4 v[54:57], v58, s[8:9] offset:32
	global_load_dwordx4 v[100:103], v58, s[8:9] offset:48
	v_and_b32_e32 v70, 3, v93
	v_lshlrev_b32_e32 v71, 5, v70
	global_load_dwordx4 v[62:65], v71, s[8:9] offset:32
	global_load_dwordx4 v[104:107], v71, s[8:9] offset:48
	;; [unrolled: 1-line block ×3, first 2 shown]
	global_load_dwordx2 v[58:59], v71, s[8:9] offset:56
	v_and_b32_e32 v71, 3, v91
	v_lshlrev_b32_e32 v80, 5, v71
	global_load_dwordx2 v[82:83], v80, s[8:9] offset:32
	v_lshrrev_b32_e32 v90, 2, v91
	v_lshrrev_b32_e32 v84, 2, v93
	v_mul_u32_u24_e32 v85, 12, v90
	v_mul_u32_u24_e32 v84, 12, v84
	v_or_b32_e32 v71, v85, v71
	v_or_b32_e32 v70, v84, v70
	v_lshl_add_u32 v98, v71, 3, 0
	v_lshl_add_u32 v96, v70, 3, 0
	v_lshrrev_b32_e32 v80, 2, v72
	v_lshrrev_b32_e32 v81, 2, v94
	v_mul_u32_u24_e32 v80, 12, v80
	v_mul_u32_u24_e32 v81, 12, v81
	v_or_b32_e32 v80, v80, v95
	v_or_b32_e32 v81, v81, v95
	v_lshl_add_u32 v99, v80, 3, 0
	v_lshl_add_u32 v97, v81, 3, 0
	s_mov_b32 s4, 0xe8584caa
	s_mov_b32 s5, 0xbfebb67a
	;; [unrolled: 1-line block ×4, first 2 shown]
	s_waitcnt vmcnt(0) lgkmcnt(0)
	s_barrier
	v_mul_f64 v[70:71], v[44:45], v[56:57]
	v_mul_f64 v[84:85], v[28:29], v[56:57]
	v_mul_f64 v[86:87], v[40:41], v[102:103]
	v_mul_f64 v[108:109], v[24:25], v[102:103]
	v_mul_f64 v[110:111], v[46:47], v[64:65]
	v_mul_f64 v[64:65], v[30:31], v[64:65]
	v_mul_f64 v[112:113], v[42:43], v[106:107]
	v_mul_f64 v[106:107], v[26:27], v[106:107]
	v_mul_f64 v[114:115], v[36:37], v[56:57]
	v_mul_f64 v[122:123], v[38:39], v[66:67]
	v_mul_f64 v[124:125], v[22:23], v[66:67]
	v_mul_f64 v[130:131], v[48:49], v[56:57]
	v_mul_f64 v[134:135], v[52:53], v[102:103]
	v_mul_f64 v[118:119], v[32:33], v[102:103]
	v_mul_f64 v[126:127], v[34:35], v[58:59]
	v_fma_f64 v[80:81], v[28:29], v[54:55], v[70:71]
	v_fma_f64 v[88:89], v[44:45], v[54:55], -v[84:85]
	v_fma_f64 v[84:85], v[24:25], v[100:101], v[86:87]
	v_mul_f64 v[116:117], v[20:21], v[56:57]
	v_mul_f64 v[120:121], v[16:17], v[102:103]
	;; [unrolled: 1-line block ×5, first 2 shown]
	v_fma_f64 v[66:67], v[40:41], v[100:101], -v[108:109]
	v_fma_f64 v[70:71], v[30:31], v[82:83], v[110:111]
	v_fma_f64 v[86:87], v[46:47], v[82:83], -v[64:65]
	v_fma_f64 v[82:83], v[26:27], v[68:69], v[112:113]
	;; [unrolled: 2-line block ×3, first 2 shown]
	v_fma_f64 v[42:43], v[22:23], v[62:63], v[122:123]
	v_fma_f64 v[58:59], v[38:39], v[62:63], -v[124:125]
	v_fma_f64 v[38:39], v[76:77], v[54:55], v[130:131]
	v_fma_f64 v[62:63], v[78:79], v[100:101], v[134:135]
	;; [unrolled: 1-line block ×4, first 2 shown]
	v_add_f64 v[18:19], v[80:81], v[84:85]
	v_fma_f64 v[46:47], v[36:37], v[54:55], -v[116:117]
	v_fma_f64 v[32:33], v[32:33], v[100:101], -v[120:121]
	;; [unrolled: 1-line block ×4, first 2 shown]
	v_add_f64 v[22:23], v[14:15], v[70:71]
	v_add_f64 v[28:29], v[8:9], v[40:41]
	;; [unrolled: 1-line block ×5, first 2 shown]
	v_fma_f64 v[34:35], v[34:35], v[104:105], -v[128:129]
	v_add_f64 v[54:55], v[42:43], v[56:57]
	v_add_f64 v[16:17], v[12:13], v[80:81]
	v_add_f64 v[20:21], v[88:89], -v[66:67]
	v_fma_f64 v[12:13], v[18:19], -0.5, v[12:13]
	v_add_f64 v[48:49], v[10:11], v[42:43]
	v_add_f64 v[78:79], v[60:61], v[38:39]
	v_add_f64 v[102:103], v[64:65], -v[36:37]
	v_add_f64 v[18:19], v[22:23], v[82:83]
	v_add_f64 v[22:23], v[28:29], v[44:45]
	v_fma_f64 v[28:29], v[100:101], -0.5, v[60:61]
	v_add_f64 v[26:27], v[86:87], -v[68:69]
	v_fma_f64 v[14:15], v[24:25], -0.5, v[14:15]
	v_add_f64 v[52:53], v[46:47], -v[32:33]
	v_fma_f64 v[8:9], v[30:31], -0.5, v[8:9]
	v_add_f64 v[76:77], v[58:59], -v[34:35]
	v_fma_f64 v[10:11], v[54:55], -0.5, v[10:11]
	v_add_f64 v[16:17], v[16:17], v[84:85]
	v_fma_f64 v[30:31], v[20:21], s[4:5], v[12:13]
	v_add_f64 v[24:25], v[48:49], v[56:57]
	v_add_f64 v[48:49], v[78:79], v[62:63]
	v_fma_f64 v[12:13], v[20:21], s[6:7], v[12:13]
	v_fma_f64 v[54:55], v[102:103], s[4:5], v[28:29]
	;; [unrolled: 1-line block ×9, first 2 shown]
	ds_write2_b64 v99, v[16:17], v[30:31] offset1:4
	ds_write_b64 v99, v[12:13] offset:64
	ds_write2_b64 v98, v[18:19], v[20:21] offset1:4
	ds_write_b64 v98, v[14:15] offset:64
	;; [unrolled: 2-line block ×4, first 2 shown]
	v_lshrrev_b32_e32 v52, 2, v92
	s_and_saveexec_b64 s[4:5], vcc
	s_cbranch_execz .LBB0_17
; %bb.16:
	v_mul_u32_u24_e32 v8, 12, v52
	v_or_b32_e32 v8, v8, v95
	v_lshl_add_u32 v8, v8, 3, 0
	ds_write2_b64 v8, v[48:49], v[54:55] offset1:4
	ds_write_b64 v8, v[60:61] offset:64
.LBB0_17:
	s_or_b64 exec, exec, s[4:5]
	v_add_u32_e32 v8, 0x1000, v73
	s_waitcnt lgkmcnt(0)
	s_barrier
	ds_read2_b64 v[28:31], v8 offset0:76 offset1:202
	v_add_u32_e32 v8, 0x2400, v73
	v_add_u32_e32 v16, 0x1800, v73
	ds_read2_b64 v[24:27], v8 offset0:24 offset1:150
	v_add_u32_e32 v8, 0x400, v73
	ds_read2_b64 v[20:23], v16 offset0:72 offset1:198
	v_add_u32_e32 v16, 0x2c00, v73
	ds_read2_b64 v[12:15], v73 offset1:126
	ds_read2_b64 v[8:11], v8 offset0:124 offset1:250
	ds_read2_b64 v[16:19], v16 offset0:20 offset1:146
	s_and_saveexec_b64 s[4:5], vcc
	s_cbranch_execz .LBB0_19
; %bb.18:
	ds_read_b64 v[48:49], v73 offset:4032
	ds_read_b64 v[54:55], v73 offset:8736
	;; [unrolled: 1-line block ×3, first 2 shown]
.LBB0_19:
	s_or_b64 exec, exec, s[4:5]
	v_add_f64 v[76:77], v[88:89], v[66:67]
	v_add_f64 v[78:79], v[4:5], v[88:89]
	;; [unrolled: 1-line block ×3, first 2 shown]
	v_add_f64 v[80:81], v[80:81], -v[84:85]
	v_add_f64 v[84:85], v[6:7], v[86:87]
	v_add_f64 v[70:71], v[70:71], -v[82:83]
	s_mov_b32 s4, 0xe8584caa
	s_mov_b32 s5, 0x3febb67a
	v_fma_f64 v[4:5], v[76:77], -0.5, v[4:5]
	s_mov_b32 s7, 0xbfebb67a
	v_fma_f64 v[6:7], v[88:89], -0.5, v[6:7]
	s_mov_b32 s6, s4
	v_add_f64 v[76:77], v[46:47], v[32:33]
	v_add_f64 v[66:67], v[78:79], v[66:67]
	v_add_f64 v[40:41], v[40:41], -v[44:45]
	v_add_f64 v[44:45], v[2:3], v[58:59]
	v_fma_f64 v[78:79], v[80:81], s[4:5], v[4:5]
	v_fma_f64 v[4:5], v[80:81], s[6:7], v[4:5]
	;; [unrolled: 1-line block ×4, first 2 shown]
	v_add_f64 v[70:71], v[64:65], v[36:37]
	v_add_f64 v[80:81], v[58:59], v[34:35]
	v_add_f64 v[42:43], v[42:43], -v[56:57]
	v_add_f64 v[56:57], v[50:51], v[64:65]
	v_add_f64 v[38:39], v[38:39], -v[62:63]
	v_add_f64 v[46:47], v[0:1], v[46:47]
	v_fma_f64 v[0:1], v[76:77], -0.5, v[0:1]
	v_add_f64 v[68:69], v[84:85], v[68:69]
	v_fma_f64 v[58:59], v[70:71], -0.5, v[50:51]
	v_fma_f64 v[2:3], v[80:81], -0.5, v[2:3]
	v_add_f64 v[34:35], v[44:45], v[34:35]
	v_add_f64 v[50:51], v[56:57], v[36:37]
	s_waitcnt lgkmcnt(0)
	v_add_f64 v[32:33], v[46:47], v[32:33]
	v_fma_f64 v[46:47], v[40:41], s[4:5], v[0:1]
	v_fma_f64 v[0:1], v[40:41], s[6:7], v[0:1]
	;; [unrolled: 1-line block ×6, first 2 shown]
	s_barrier
	ds_write2_b64 v99, v[66:67], v[78:79] offset1:4
	ds_write_b64 v99, v[4:5] offset:64
	ds_write2_b64 v98, v[68:69], v[82:83] offset1:4
	ds_write_b64 v98, v[6:7] offset:64
	;; [unrolled: 2-line block ×4, first 2 shown]
	s_and_saveexec_b64 s[4:5], vcc
	s_cbranch_execz .LBB0_21
; %bb.20:
	v_mul_u32_u24_e32 v0, 12, v52
	v_or_b32_e32 v0, v0, v95
	v_lshl_add_u32 v0, v0, 3, 0
	ds_write2_b64 v0, v[50:51], v[56:57] offset1:4
	ds_write_b64 v0, v[62:63] offset:64
.LBB0_21:
	s_or_b64 exec, exec, s[4:5]
	v_add_u32_e32 v4, 0x1000, v73
	s_waitcnt lgkmcnt(0)
	s_barrier
	ds_read2_b64 v[44:47], v4 offset0:76 offset1:202
	v_add_u32_e32 v4, 0x2400, v73
	v_add_u32_e32 v32, 0x1800, v73
	ds_read2_b64 v[40:43], v4 offset0:24 offset1:150
	v_add_u32_e32 v4, 0x400, v73
	ds_read2_b64 v[36:39], v32 offset0:72 offset1:198
	v_add_u32_e32 v32, 0x2c00, v73
	ds_read2_b64 v[0:3], v73 offset1:126
	ds_read2_b64 v[4:7], v4 offset0:124 offset1:250
	ds_read2_b64 v[32:35], v32 offset0:20 offset1:146
	s_and_saveexec_b64 s[4:5], vcc
	s_cbranch_execz .LBB0_23
; %bb.22:
	ds_read_b64 v[50:51], v73 offset:4032
	ds_read_b64 v[56:57], v73 offset:8736
	;; [unrolled: 1-line block ×3, first 2 shown]
.LBB0_23:
	s_or_b64 exec, exec, s[4:5]
	s_movk_i32 s4, 0xab
	v_mul_lo_u16_sdwa v52, v72, s4 dst_sel:DWORD dst_unused:UNUSED_PAD src0_sel:BYTE_0 src1_sel:DWORD
	v_lshrrev_b16_e32 v84, 11, v52
	v_mul_lo_u16_e32 v52, 12, v84
	v_sub_u16_e32 v85, v72, v52
	v_mov_b32_e32 v58, 5
	v_lshlrev_b32_sdwa v52, v58, v85 dst_sel:DWORD dst_unused:UNUSED_PAD src0_sel:DWORD src1_sel:BYTE_0
	global_load_dwordx4 v[64:67], v52, s[8:9] offset:176
	global_load_dwordx4 v[68:71], v52, s[8:9] offset:160
	s_mov_b32 s7, 0x3febb67a
	s_waitcnt vmcnt(0) lgkmcnt(5)
	v_mul_f64 v[52:53], v[44:45], v[70:71]
	v_fma_f64 v[52:53], v[28:29], v[68:69], v[52:53]
	v_mul_f64 v[28:29], v[28:29], v[70:71]
	v_fma_f64 v[28:29], v[44:45], v[68:69], -v[28:29]
	s_waitcnt lgkmcnt(4)
	v_mul_f64 v[44:45], v[40:41], v[66:67]
	v_fma_f64 v[44:45], v[24:25], v[64:65], v[44:45]
	v_mul_f64 v[24:25], v[24:25], v[66:67]
	v_fma_f64 v[24:25], v[40:41], v[64:65], -v[24:25]
	v_mul_lo_u16_sdwa v40, v91, s4 dst_sel:DWORD dst_unused:UNUSED_PAD src0_sel:BYTE_0 src1_sel:DWORD
	v_lshrrev_b16_e32 v86, 11, v40
	v_mul_lo_u16_e32 v40, 12, v86
	v_sub_u16_e32 v87, v91, v40
	v_lshlrev_b32_sdwa v40, v58, v87 dst_sel:DWORD dst_unused:UNUSED_PAD src0_sel:DWORD src1_sel:BYTE_0
	global_load_dwordx4 v[64:67], v40, s[8:9] offset:176
	global_load_dwordx4 v[68:71], v40, s[8:9] offset:160
	s_mov_b32 s4, 0xaaab
	s_waitcnt vmcnt(0)
	v_mul_f64 v[40:41], v[46:47], v[70:71]
	v_fma_f64 v[40:41], v[30:31], v[68:69], v[40:41]
	v_mul_f64 v[30:31], v[30:31], v[70:71]
	v_fma_f64 v[30:31], v[46:47], v[68:69], -v[30:31]
	v_mul_f64 v[46:47], v[42:43], v[66:67]
	v_fma_f64 v[46:47], v[26:27], v[64:65], v[46:47]
	v_mul_f64 v[26:27], v[26:27], v[66:67]
	v_fma_f64 v[26:27], v[42:43], v[64:65], -v[26:27]
	v_mul_u32_u24_sdwa v42, v94, s4 dst_sel:DWORD dst_unused:UNUSED_PAD src0_sel:WORD_0 src1_sel:DWORD
	v_lshrrev_b32_e32 v88, 19, v42
	v_mul_lo_u16_e32 v42, 12, v88
	v_sub_u16_e32 v89, v94, v42
	v_lshlrev_b32_e32 v42, 5, v89
	global_load_dwordx4 v[64:67], v42, s[8:9] offset:176
	global_load_dwordx4 v[68:71], v42, s[8:9] offset:160
	s_waitcnt vmcnt(0) lgkmcnt(3)
	v_mul_f64 v[42:43], v[36:37], v[70:71]
	v_fma_f64 v[42:43], v[20:21], v[68:69], v[42:43]
	v_mul_f64 v[20:21], v[20:21], v[70:71]
	v_fma_f64 v[36:37], v[36:37], v[68:69], -v[20:21]
	s_waitcnt lgkmcnt(0)
	v_mul_f64 v[20:21], v[32:33], v[66:67]
	v_fma_f64 v[20:21], v[16:17], v[64:65], v[20:21]
	v_mul_f64 v[16:17], v[16:17], v[66:67]
	v_add_f64 v[76:77], v[42:43], v[20:21]
	v_fma_f64 v[16:17], v[32:33], v[64:65], -v[16:17]
	v_mul_u32_u24_sdwa v32, v93, s4 dst_sel:DWORD dst_unused:UNUSED_PAD src0_sel:WORD_0 src1_sel:DWORD
	v_lshrrev_b32_e32 v94, 19, v32
	v_mul_lo_u16_e32 v32, 12, v94
	v_sub_u16_e32 v93, v93, v32
	v_lshlrev_b32_e32 v32, 5, v93
	global_load_dwordx4 v[64:67], v32, s[8:9] offset:176
	global_load_dwordx4 v[68:71], v32, s[8:9] offset:160
	s_waitcnt vmcnt(0)
	v_mul_f64 v[32:33], v[38:39], v[70:71]
	v_fma_f64 v[32:33], v[22:23], v[68:69], v[32:33]
	v_mul_f64 v[22:23], v[22:23], v[70:71]
	v_fma_f64 v[58:59], v[38:39], v[68:69], -v[22:23]
	v_mul_f64 v[22:23], v[34:35], v[66:67]
	v_fma_f64 v[22:23], v[18:19], v[64:65], v[22:23]
	v_mul_f64 v[18:19], v[18:19], v[66:67]
	v_add_f64 v[80:81], v[32:33], v[22:23]
	v_fma_f64 v[18:19], v[34:35], v[64:65], -v[18:19]
	v_mul_u32_u24_sdwa v34, v92, s4 dst_sel:DWORD dst_unused:UNUSED_PAD src0_sel:WORD_0 src1_sel:DWORD
	v_lshrrev_b32_e32 v95, 19, v34
	v_mul_lo_u16_e32 v34, 12, v95
	v_sub_u16_e32 v92, v92, v34
	v_lshlrev_b32_e32 v34, 5, v92
	global_load_dwordx4 v[64:67], v34, s[8:9] offset:176
	global_load_dwordx4 v[68:71], v34, s[8:9] offset:160
	s_mov_b32 s4, 0xe8584caa
	s_mov_b32 s5, 0xbfebb67a
	s_mov_b32 s6, s4
	s_waitcnt vmcnt(0)
	s_barrier
	v_mul_f64 v[34:35], v[56:57], v[70:71]
	v_mul_f64 v[38:39], v[54:55], v[70:71]
	v_mov_b32_e32 v71, 3
	v_fma_f64 v[34:35], v[54:55], v[68:69], v[34:35]
	v_fma_f64 v[54:55], v[56:57], v[68:69], -v[38:39]
	v_mul_f64 v[38:39], v[62:63], v[66:67]
	v_fma_f64 v[56:57], v[60:61], v[64:65], v[38:39]
	v_mul_f64 v[38:39], v[60:61], v[66:67]
	v_add_f64 v[60:61], v[12:13], v[52:53]
	v_add_f64 v[67:68], v[40:41], v[46:47]
	v_fma_f64 v[38:39], v[62:63], v[64:65], -v[38:39]
	v_add_f64 v[63:64], v[52:53], v[44:45]
	v_add_f64 v[61:62], v[60:61], v[44:45]
	v_mul_u32_u24_e32 v60, 0x120, v84
	v_fma_f64 v[12:13], v[63:64], -0.5, v[12:13]
	v_add_f64 v[63:64], v[28:29], -v[24:25]
	v_fma_f64 v[65:66], v[63:64], s[4:5], v[12:13]
	v_fma_f64 v[12:13], v[63:64], s[6:7], v[12:13]
	v_add_f64 v[63:64], v[14:15], v[40:41]
	v_fma_f64 v[14:15], v[67:68], -0.5, v[14:15]
	v_add_f64 v[67:68], v[30:31], -v[26:27]
	v_add_f64 v[63:64], v[63:64], v[46:47]
	v_fma_f64 v[69:70], v[67:68], s[4:5], v[14:15]
	v_fma_f64 v[14:15], v[67:68], s[6:7], v[14:15]
	v_add_f64 v[67:68], v[8:9], v[42:43]
	v_fma_f64 v[8:9], v[76:77], -0.5, v[8:9]
	v_add_f64 v[76:77], v[36:37], -v[16:17]
	v_add_f64 v[67:68], v[67:68], v[20:21]
	;; [unrolled: 6-line block ×3, first 2 shown]
	v_fma_f64 v[82:83], v[80:81], s[4:5], v[10:11]
	v_fma_f64 v[10:11], v[80:81], s[6:7], v[10:11]
	v_lshlrev_b32_sdwa v80, v71, v85 dst_sel:DWORD dst_unused:UNUSED_PAD src0_sel:DWORD src1_sel:BYTE_0
	v_add3_u32 v60, 0, v60, v80
	ds_write2_b64 v60, v[61:62], v[65:66] offset1:12
	ds_write_b64 v60, v[12:13] offset:192
	v_mul_u32_u24_e32 v12, 0x120, v86
	v_lshlrev_b32_sdwa v13, v71, v87 dst_sel:DWORD dst_unused:UNUSED_PAD src0_sel:DWORD src1_sel:BYTE_0
	v_add3_u32 v61, 0, v12, v13
	v_mul_u32_u24_e32 v12, 0x120, v88
	v_lshlrev_b32_e32 v13, 3, v89
	v_add3_u32 v62, 0, v12, v13
	ds_write2_b64 v61, v[63:64], v[69:70] offset1:12
	ds_write_b64 v61, v[14:15] offset:192
	ds_write2_b64 v62, v[67:68], v[78:79] offset1:12
	ds_write_b64 v62, v[8:9] offset:192
	v_mul_u32_u24_e32 v8, 0x120, v94
	v_lshlrev_b32_e32 v9, 3, v93
	v_add3_u32 v65, 0, v8, v9
	v_mul_lo_u16_e32 v63, 36, v95
	v_lshlrev_b32_e32 v64, 3, v92
	ds_write2_b64 v65, v[76:77], v[82:83] offset1:12
	ds_write_b64 v65, v[10:11] offset:192
	s_and_saveexec_b64 s[10:11], vcc
	s_cbranch_execz .LBB0_25
; %bb.24:
	v_add_f64 v[8:9], v[34:35], v[56:57]
	v_add_f64 v[10:11], v[54:55], -v[38:39]
	v_add_f64 v[12:13], v[48:49], v[34:35]
	v_fma_f64 v[8:9], v[8:9], -0.5, v[48:49]
	v_add_f64 v[12:13], v[12:13], v[56:57]
	v_fma_f64 v[14:15], v[10:11], s[4:5], v[8:9]
	v_fma_f64 v[8:9], v[10:11], s[6:7], v[8:9]
	v_lshlrev_b32_e32 v10, 3, v63
	v_add3_u32 v10, 0, v64, v10
	ds_write2_b64 v10, v[12:13], v[14:15] offset1:12
	ds_write_b64 v10, v[8:9] offset:192
.LBB0_25:
	s_or_b64 exec, exec, s[10:11]
	v_add_f64 v[8:9], v[28:29], v[24:25]
	v_add_f64 v[10:11], v[0:1], v[28:29]
	;; [unrolled: 1-line block ×3, first 2 shown]
	v_add_f64 v[12:13], v[52:53], -v[44:45]
	v_add_f64 v[14:15], v[2:3], v[30:31]
	v_add_f64 v[30:31], v[40:41], -v[46:47]
	v_add_f64 v[40:41], v[36:37], v[16:17]
	v_add_f64 v[20:21], v[42:43], -v[20:21]
	v_fma_f64 v[0:1], v[8:9], -0.5, v[0:1]
	v_add_f64 v[8:9], v[4:5], v[36:37]
	v_add_f64 v[36:37], v[58:59], v[18:19]
	v_fma_f64 v[2:3], v[28:29], -0.5, v[2:3]
	v_add_f64 v[42:43], v[6:7], v[58:59]
	v_add_f64 v[44:45], v[10:11], v[24:25]
	v_fma_f64 v[4:5], v[40:41], -0.5, v[4:5]
	v_add_u32_e32 v28, 0x400, v73
	v_fma_f64 v[40:41], v[12:13], s[6:7], v[0:1]
	v_fma_f64 v[46:47], v[12:13], s[4:5], v[0:1]
	v_fma_f64 v[0:1], v[36:37], -0.5, v[6:7]
	v_add_f64 v[6:7], v[32:33], -v[22:23]
	v_add_f64 v[36:37], v[14:15], v[26:27]
	v_fma_f64 v[48:49], v[30:31], s[6:7], v[2:3]
	v_fma_f64 v[52:53], v[30:31], s[4:5], v[2:3]
	v_add_u32_e32 v29, 0xc00, v73
	v_add_u32_e32 v30, 0x1400, v73
	;; [unrolled: 1-line block ×5, first 2 shown]
	v_add_f64 v[58:59], v[8:9], v[16:17]
	v_fma_f64 v[66:67], v[20:21], s[6:7], v[4:5]
	v_fma_f64 v[68:69], v[20:21], s[4:5], v[4:5]
	v_add_f64 v[42:43], v[42:43], v[18:19]
	v_fma_f64 v[70:71], v[6:7], s[6:7], v[0:1]
	v_fma_f64 v[76:77], v[6:7], s[4:5], v[0:1]
	s_waitcnt lgkmcnt(0)
	s_barrier
	ds_read2_b64 v[0:3], v73 offset1:126
	ds_read2_b64 v[24:27], v28 offset0:124 offset1:250
	ds_read2_b64 v[20:23], v29 offset0:120 offset1:246
	;; [unrolled: 1-line block ×6, first 2 shown]
	s_waitcnt lgkmcnt(0)
	s_barrier
	ds_write2_b64 v60, v[44:45], v[40:41] offset1:12
	ds_write_b64 v60, v[46:47] offset:192
	ds_write2_b64 v61, v[36:37], v[48:49] offset1:12
	ds_write_b64 v61, v[52:53] offset:192
	;; [unrolled: 2-line block ×4, first 2 shown]
	s_and_saveexec_b64 s[4:5], vcc
	s_cbranch_execz .LBB0_27
; %bb.26:
	v_add_f64 v[36:37], v[54:55], v[38:39]
	v_add_f64 v[40:41], v[50:51], v[54:55]
	v_add_f64 v[34:35], v[34:35], -v[56:57]
	s_mov_b32 s6, 0xe8584caa
	v_fma_f64 v[36:37], v[36:37], -0.5, v[50:51]
	v_add_f64 v[38:39], v[40:41], v[38:39]
	v_fma_f64 v[40:41], v[34:35], s[6:7], v[36:37]
	s_mov_b32 s7, 0xbfebb67a
	v_fma_f64 v[34:35], v[34:35], s[6:7], v[36:37]
	v_lshlrev_b32_e32 v36, 3, v63
	v_add3_u32 v36, 0, v64, v36
	ds_write2_b64 v36, v[38:39], v[40:41] offset1:12
	ds_write_b64 v36, v[34:35] offset:192
.LBB0_27:
	s_or_b64 exec, exec, s[4:5]
	v_mov_b32_e32 v38, 57
	v_mul_lo_u16_sdwa v34, v72, v38 dst_sel:DWORD dst_unused:UNUSED_PAD src0_sel:BYTE_0 src1_sel:DWORD
	v_lshrrev_b16_e32 v120, 11, v34
	v_mul_lo_u16_e32 v34, 36, v120
	v_sub_u16_e32 v121, v72, v34
	v_mov_b32_e32 v39, 6
	v_mul_u32_u24_sdwa v34, v121, v39 dst_sel:DWORD dst_unused:UNUSED_PAD src0_sel:BYTE_0 src1_sel:DWORD
	v_lshlrev_b32_e32 v70, 4, v34
	s_waitcnt lgkmcnt(0)
	s_barrier
	global_load_dwordx4 v[34:37], v70, s[8:9] offset:544
	v_mul_lo_u16_sdwa v38, v91, v38 dst_sel:DWORD dst_unused:UNUSED_PAD src0_sel:BYTE_0 src1_sel:DWORD
	v_lshrrev_b16_e32 v122, 11, v38
	v_mul_lo_u16_e32 v38, 36, v122
	v_sub_u16_e32 v123, v91, v38
	v_mul_u32_u24_sdwa v38, v123, v39 dst_sel:DWORD dst_unused:UNUSED_PAD src0_sel:BYTE_0 src1_sel:DWORD
	v_lshlrev_b32_e32 v71, 4, v38
	global_load_dwordx4 v[38:41], v71, s[8:9] offset:544
	global_load_dwordx4 v[42:45], v70, s[8:9] offset:560
	;; [unrolled: 1-line block ×11, first 2 shown]
	ds_read2_b64 v[92:95], v73 offset1:126
	ds_read2_b64 v[96:99], v28 offset0:124 offset1:250
	ds_read2_b64 v[100:103], v29 offset0:120 offset1:246
	;; [unrolled: 1-line block ×6, first 2 shown]
	s_mov_b32 s6, 0x37e14327
	s_mov_b32 s10, 0x36b3c0b5
	s_mov_b32 s12, 0xe976ee23
	s_mov_b32 s4, 0x429ad128
	s_mov_b32 s7, 0x3fe948f6
	s_mov_b32 s11, 0x3fac98ee
	s_mov_b32 s13, 0x3fe11646
	s_mov_b32 s5, 0xbfebfeb5
	s_mov_b32 s14, 0xaaaaaaaa
	s_mov_b32 s16, 0x5476071b
	s_mov_b32 s24, 0xb247c609
	s_mov_b32 s15, 0xbff2aaaa
	s_mov_b32 s17, 0x3fe77f67
	s_mov_b32 s19, 0xbfe77f67
	s_mov_b32 s18, s16
	s_mov_b32 s25, 0xbfd5d0dc
	s_mov_b32 s23, 0x3fd5d0dc
	s_mov_b32 s22, s24
	s_mov_b32 s20, 0x37c3f68c
	s_mov_b32 s21, 0xbfdc38aa
	s_waitcnt vmcnt(0) lgkmcnt(0)
	s_barrier
	s_movk_i32 s26, 0x7e0
	v_mul_f64 v[88:89], v[98:99], v[40:41]
	v_mul_f64 v[70:71], v[96:97], v[36:37]
	;; [unrolled: 1-line block ×3, first 2 shown]
	v_fma_f64 v[24:25], v[24:25], v[34:35], v[70:71]
	v_fma_f64 v[34:35], v[96:97], v[34:35], -v[36:37]
	v_mul_f64 v[36:37], v[26:27], v[40:41]
	v_mul_f64 v[40:41], v[100:101], v[44:45]
	v_fma_f64 v[26:27], v[26:27], v[38:39], v[88:89]
	v_mul_f64 v[44:45], v[20:21], v[44:45]
	v_mul_f64 v[88:89], v[108:109], v[56:57]
	;; [unrolled: 1-line block ×4, first 2 shown]
	v_fma_f64 v[36:37], v[98:99], v[38:39], -v[36:37]
	v_mul_f64 v[38:39], v[102:103], v[52:53]
	v_mul_f64 v[52:53], v[22:23], v[52:53]
	v_fma_f64 v[20:21], v[20:21], v[42:43], v[40:41]
	v_fma_f64 v[40:41], v[100:101], v[42:43], -v[44:45]
	v_mul_f64 v[42:43], v[12:13], v[56:57]
	v_mul_f64 v[44:45], v[112:113], v[60:61]
	;; [unrolled: 1-line block ×3, first 2 shown]
	v_fma_f64 v[8:9], v[8:9], v[46:47], v[70:71]
	v_fma_f64 v[22:23], v[22:23], v[50:51], v[38:39]
	v_mul_f64 v[38:39], v[16:17], v[60:61]
	v_fma_f64 v[50:51], v[102:103], v[50:51], -v[52:53]
	v_mul_f64 v[52:53], v[4:5], v[64:65]
	v_mul_f64 v[60:61], v[106:107], v[68:69]
	v_fma_f64 v[16:17], v[16:17], v[58:59], v[44:45]
	v_fma_f64 v[4:5], v[4:5], v[62:63], v[56:57]
	v_mul_f64 v[64:65], v[10:11], v[68:69]
	v_fma_f64 v[46:47], v[104:105], v[46:47], -v[48:49]
	v_fma_f64 v[38:39], v[112:113], v[58:59], -v[38:39]
	v_fma_f64 v[12:13], v[12:13], v[54:55], v[88:89]
	v_fma_f64 v[52:53], v[116:117], v[62:63], -v[52:53]
	v_fma_f64 v[42:43], v[108:109], v[54:55], -v[42:43]
	v_fma_f64 v[10:11], v[10:11], v[66:67], v[60:61]
	v_add_f64 v[58:59], v[24:25], v[4:5]
	v_add_f64 v[4:5], v[24:25], -v[4:5]
	v_mul_f64 v[68:69], v[110:111], v[78:79]
	v_mul_f64 v[48:49], v[14:15], v[78:79]
	;; [unrolled: 1-line block ×3, first 2 shown]
	v_add_f64 v[60:61], v[34:35], v[52:53]
	v_add_f64 v[24:25], v[34:35], -v[52:53]
	v_add_f64 v[34:35], v[20:21], v[16:17]
	v_add_f64 v[52:53], v[40:41], v[38:39]
	v_add_f64 v[16:17], v[20:21], -v[16:17]
	v_add_f64 v[20:21], v[40:41], -v[38:39]
	v_add_f64 v[38:39], v[8:9], v[12:13]
	v_add_f64 v[40:41], v[46:47], v[42:43]
	v_add_f64 v[8:9], v[12:13], -v[8:9]
	v_add_f64 v[12:13], v[42:43], -v[46:47]
	v_add_f64 v[42:43], v[34:35], v[58:59]
	v_add_f64 v[46:47], v[52:53], v[60:61]
	v_mul_f64 v[54:55], v[18:19], v[82:83]
	v_fma_f64 v[56:57], v[106:107], v[66:67], -v[64:65]
	v_fma_f64 v[14:15], v[14:15], v[76:77], v[68:69]
	v_fma_f64 v[48:49], v[110:111], v[76:77], -v[48:49]
	v_fma_f64 v[18:19], v[18:19], v[80:81], v[70:71]
	v_add_f64 v[62:63], v[34:35], -v[58:59]
	v_add_f64 v[64:65], v[52:53], -v[60:61]
	;; [unrolled: 1-line block ×6, first 2 shown]
	v_add_f64 v[66:67], v[8:9], v[16:17]
	v_add_f64 v[68:69], v[12:13], v[20:21]
	v_add_f64 v[70:71], v[8:9], -v[16:17]
	v_add_f64 v[76:77], v[12:13], -v[20:21]
	v_add_f64 v[38:39], v[38:39], v[42:43]
	v_add_f64 v[40:41], v[40:41], v[46:47]
	v_add_f64 v[16:17], v[16:17], -v[4:5]
	v_add_f64 v[20:21], v[20:21], -v[24:25]
	v_fma_f64 v[54:55], v[114:115], v[80:81], -v[54:55]
	v_add_f64 v[8:9], v[4:5], -v[8:9]
	v_add_f64 v[12:13], v[24:25], -v[12:13]
	v_add_f64 v[4:5], v[66:67], v[4:5]
	v_add_f64 v[24:25], v[68:69], v[24:25]
	v_mul_f64 v[42:43], v[58:59], s[6:7]
	v_mul_f64 v[46:47], v[60:61], s[6:7]
	v_add_f64 v[0:1], v[0:1], v[38:39]
	v_add_f64 v[58:59], v[92:93], v[40:41]
	v_mul_f64 v[60:61], v[34:35], s[10:11]
	v_mul_f64 v[66:67], v[52:53], s[10:11]
	;; [unrolled: 1-line block ×7, first 2 shown]
	v_fma_f64 v[38:39], v[38:39], s[14:15], v[0:1]
	v_fma_f64 v[40:41], v[40:41], s[14:15], v[58:59]
	;; [unrolled: 1-line block ×4, first 2 shown]
	v_fma_f64 v[60:61], v[62:63], s[16:17], -v[60:61]
	v_fma_f64 v[66:67], v[64:65], s[16:17], -v[66:67]
	;; [unrolled: 1-line block ×4, first 2 shown]
	v_fma_f64 v[62:63], v[8:9], s[24:25], v[68:69]
	v_fma_f64 v[64:65], v[12:13], s[24:25], v[70:71]
	v_fma_f64 v[16:17], v[16:17], s[4:5], -v[68:69]
	v_fma_f64 v[20:21], v[20:21], s[4:5], -v[70:71]
	;; [unrolled: 1-line block ×4, first 2 shown]
	v_mul_f64 v[44:45], v[6:7], v[86:87]
	v_add_f64 v[34:35], v[34:35], v[38:39]
	v_add_f64 v[52:53], v[52:53], v[40:41]
	;; [unrolled: 1-line block ×6, first 2 shown]
	v_fma_f64 v[46:47], v[4:5], s[20:21], v[62:63]
	v_fma_f64 v[12:13], v[24:25], s[20:21], v[12:13]
	v_fma_f64 v[8:9], v[4:5], s[20:21], v[8:9]
	v_fma_f64 v[20:21], v[24:25], s[20:21], v[20:21]
	v_fma_f64 v[4:5], v[4:5], s[20:21], v[16:17]
	v_fma_f64 v[6:7], v[6:7], v[84:85], v[78:79]
	v_fma_f64 v[16:17], v[118:119], v[84:85], -v[44:45]
	v_fma_f64 v[42:43], v[24:25], s[20:21], v[64:65]
	v_add_f64 v[44:45], v[52:53], -v[46:47]
	v_add_f64 v[62:63], v[12:13], v[38:39]
	v_add_f64 v[64:65], v[40:41], -v[8:9]
	v_add_f64 v[68:69], v[60:61], -v[20:21]
	v_add_f64 v[70:71], v[4:5], v[66:67]
	v_add_f64 v[20:21], v[20:21], v[60:61]
	v_add_f64 v[60:61], v[66:67], -v[4:5]
	v_add_f64 v[4:5], v[38:39], -v[12:13]
	v_add_f64 v[38:39], v[8:9], v[40:41]
	v_add_f64 v[8:9], v[26:27], v[6:7]
	v_add_f64 v[6:7], v[26:27], -v[6:7]
	v_add_f64 v[26:27], v[22:23], v[18:19]
	v_add_f64 v[12:13], v[36:37], v[16:17]
	v_add_f64 v[16:17], v[36:37], -v[16:17]
	v_add_f64 v[36:37], v[50:51], v[54:55]
	v_add_f64 v[18:19], v[22:23], -v[18:19]
	v_add_f64 v[22:23], v[50:51], -v[54:55]
	v_add_f64 v[40:41], v[10:11], v[14:15]
	v_add_f64 v[50:51], v[56:57], v[48:49]
	v_add_f64 v[10:11], v[14:15], -v[10:11]
	v_add_f64 v[14:15], v[48:49], -v[56:57]
	v_add_f64 v[48:49], v[26:27], v[8:9]
	v_add_f64 v[54:55], v[36:37], v[12:13]
	v_add_f64 v[56:57], v[26:27], -v[8:9]
	v_add_f64 v[66:67], v[36:37], -v[12:13]
	;; [unrolled: 1-line block ×6, first 2 shown]
	v_add_f64 v[76:77], v[10:11], v[18:19]
	v_add_f64 v[78:79], v[14:15], v[22:23]
	v_add_f64 v[80:81], v[10:11], -v[18:19]
	v_add_f64 v[82:83], v[14:15], -v[22:23]
	v_add_f64 v[40:41], v[40:41], v[48:49]
	v_add_f64 v[22:23], v[22:23], -v[16:17]
	v_add_f64 v[48:49], v[50:51], v[54:55]
	v_add_f64 v[18:19], v[18:19], -v[6:7]
	v_add_f64 v[10:11], v[6:7], -v[10:11]
	;; [unrolled: 1-line block ×3, first 2 shown]
	v_add_f64 v[6:7], v[76:77], v[6:7]
	v_add_f64 v[16:17], v[78:79], v[16:17]
	;; [unrolled: 1-line block ×3, first 2 shown]
	v_mul_f64 v[8:9], v[8:9], s[6:7]
	v_mul_f64 v[12:13], v[12:13], s[6:7]
	;; [unrolled: 1-line block ×7, first 2 shown]
	v_add_f64 v[50:51], v[94:95], v[48:49]
	v_mul_f64 v[82:83], v[18:19], s[4:5]
	v_fma_f64 v[40:41], v[40:41], s[14:15], v[2:3]
	v_fma_f64 v[26:27], v[26:27], s[10:11], v[8:9]
	;; [unrolled: 1-line block ×3, first 2 shown]
	v_fma_f64 v[54:55], v[56:57], s[16:17], -v[54:55]
	v_fma_f64 v[76:77], v[66:67], s[16:17], -v[76:77]
	;; [unrolled: 1-line block ×4, first 2 shown]
	v_fma_f64 v[66:67], v[14:15], s[24:25], v[80:81]
	v_fma_f64 v[22:23], v[22:23], s[4:5], -v[80:81]
	v_fma_f64 v[14:15], v[14:15], s[22:23], -v[84:85]
	v_fma_f64 v[48:49], v[48:49], s[14:15], v[50:51]
	v_fma_f64 v[56:57], v[10:11], s[24:25], v[78:79]
	v_fma_f64 v[18:19], v[18:19], s[4:5], -v[78:79]
	v_fma_f64 v[10:11], v[10:11], s[22:23], -v[82:83]
	v_add_f64 v[26:27], v[26:27], v[40:41]
	v_add_f64 v[54:55], v[54:55], v[40:41]
	;; [unrolled: 1-line block ×3, first 2 shown]
	v_fma_f64 v[40:41], v[16:17], s[20:21], v[66:67]
	v_fma_f64 v[14:15], v[16:17], s[20:21], v[14:15]
	;; [unrolled: 1-line block ×3, first 2 shown]
	v_add_f64 v[36:37], v[36:37], v[48:49]
	v_add_f64 v[76:77], v[76:77], v[48:49]
	v_add_f64 v[12:13], v[12:13], v[48:49]
	v_fma_f64 v[48:49], v[6:7], s[20:21], v[56:57]
	v_fma_f64 v[10:11], v[6:7], s[20:21], v[10:11]
	;; [unrolled: 1-line block ×3, first 2 shown]
	v_add_f64 v[24:25], v[42:43], v[34:35]
	v_add_f64 v[22:23], v[40:41], v[26:27]
	v_add_f64 v[18:19], v[34:35], -v[42:43]
	v_add_f64 v[34:35], v[46:47], v[52:53]
	v_add_f64 v[46:47], v[14:15], v[8:9]
	v_add_f64 v[56:57], v[54:55], -v[16:17]
	;; [unrolled: 3-line block ×3, first 2 shown]
	v_add_f64 v[6:7], v[8:9], -v[14:15]
	v_add_f64 v[52:53], v[12:13], -v[10:11]
	v_add_f64 v[76:77], v[10:11], v[12:13]
	v_add_f64 v[8:9], v[26:27], -v[40:41]
	v_mov_b32_e32 v11, 3
	v_mul_u32_u24_e32 v10, 0x7e0, v120
	v_lshlrev_b32_sdwa v12, v11, v121 dst_sel:DWORD dst_unused:UNUSED_PAD src0_sel:DWORD src1_sel:BYTE_0
	v_add3_u32 v40, 0, v10, v12
	ds_write2_b64 v40, v[0:1], v[24:25] offset1:36
	ds_write2_b64 v40, v[62:63], v[68:69] offset0:72 offset1:108
	ds_write2_b64 v40, v[20:21], v[4:5] offset0:144 offset1:180
	ds_write_b64 v40, v[18:19] offset:1728
	v_mul_u32_u24_e32 v0, 0x7e0, v122
	v_lshlrev_b32_sdwa v1, v11, v123 dst_sel:DWORD dst_unused:UNUSED_PAD src0_sel:DWORD src1_sel:BYTE_0
	v_add3_u32 v41, 0, v0, v1
	ds_write2_b64 v41, v[2:3], v[22:23] offset1:36
	ds_write2_b64 v41, v[46:47], v[56:57] offset0:72 offset1:108
	ds_write2_b64 v41, v[16:17], v[6:7] offset0:144 offset1:180
	ds_write_b64 v41, v[8:9] offset:1728
	s_waitcnt lgkmcnt(0)
	s_barrier
	ds_read2_b64 v[0:3], v73 offset1:126
	ds_read2_b64 v[16:19], v28 offset0:124 offset1:250
	ds_read2_b64 v[12:15], v29 offset0:120 offset1:246
	;; [unrolled: 1-line block ×6, first 2 shown]
	v_add_f64 v[42:43], v[36:37], -v[48:49]
	v_add_f64 v[36:37], v[48:49], v[36:37]
	s_waitcnt lgkmcnt(0)
	s_barrier
	ds_write2_b64 v40, v[58:59], v[44:45] offset1:36
	ds_write2_b64 v40, v[64:65], v[70:71] offset0:72 offset1:108
	ds_write2_b64 v40, v[60:61], v[38:39] offset0:144 offset1:180
	ds_write_b64 v40, v[34:35] offset:1728
	ds_write2_b64 v41, v[50:51], v[42:43] offset1:36
	ds_write2_b64 v41, v[52:53], v[66:67] offset0:72 offset1:108
	ds_write2_b64 v41, v[54:55], v[76:77] offset0:144 offset1:180
	ds_write_b64 v41, v[36:37] offset:1728
	s_waitcnt lgkmcnt(0)
	s_barrier
	s_and_saveexec_b64 s[28:29], s[0:1]
	s_cbranch_execz .LBB0_29
; %bb.28:
	v_mul_u32_u24_e32 v28, 6, v91
	v_lshlrev_b32_e32 v52, 4, v28
	global_load_dwordx4 v[28:31], v52, s[8:9] offset:4080
	global_load_dwordx4 v[32:35], v52, s[8:9] offset:4000
	;; [unrolled: 1-line block ×6, first 2 shown]
	v_mul_u32_u24_e32 v52, 6, v72
	v_lshlrev_b32_e32 v80, 4, v52
	global_load_dwordx4 v[52:55], v80, s[8:9] offset:4080
	global_load_dwordx4 v[56:59], v80, s[8:9] offset:4000
	;; [unrolled: 1-line block ×6, first 2 shown]
	v_add_u32_e32 v84, 0x2c00, v73
	v_add_u32_e32 v99, 0x1400, v73
	;; [unrolled: 1-line block ×5, first 2 shown]
	ds_read2_b64 v[80:83], v73 offset1:126
	ds_read2_b64 v[84:87], v84 offset0:104 offset1:230
	ds_read2_b64 v[91:94], v88 offset0:124 offset1:250
	;; [unrolled: 1-line block ×5, first 2 shown]
	v_add_u32_e32 v107, 0xc00, v73
	ds_read2_b64 v[107:110], v107 offset0:120 offset1:246
	v_mov_b32_e32 v73, 0
	s_movk_i32 s0, 0x1000
	s_movk_i32 s1, 0x3000
	s_waitcnt vmcnt(11) lgkmcnt(5)
	v_mul_f64 v[88:89], v[30:31], v[86:87]
	v_mul_f64 v[30:31], v[26:27], v[30:31]
	s_waitcnt vmcnt(10)
	v_mul_f64 v[111:112], v[18:19], v[32:33]
	s_waitcnt vmcnt(9) lgkmcnt(3)
	v_mul_f64 v[113:114], v[38:39], v[97:98]
	v_mul_f64 v[18:19], v[18:19], v[34:35]
	s_waitcnt vmcnt(8) lgkmcnt(1)
	v_mul_f64 v[115:116], v[42:43], v[105:106]
	v_mul_f64 v[42:43], v[22:23], v[42:43]
	;; [unrolled: 1-line block ×3, first 2 shown]
	v_fma_f64 v[26:27], v[26:27], v[28:29], v[88:89]
	v_fma_f64 v[28:29], v[28:29], v[86:87], -v[30:31]
	s_waitcnt vmcnt(7)
	v_mul_f64 v[30:31], v[46:47], v[101:102]
	s_waitcnt vmcnt(6)
	v_mul_f64 v[86:87], v[14:15], v[48:49]
	v_mul_f64 v[14:15], v[14:15], v[50:51]
	v_fma_f64 v[34:35], v[93:94], v[34:35], v[111:112]
	v_fma_f64 v[18:19], v[93:94], v[32:33], -v[18:19]
	v_mul_f64 v[32:33], v[10:11], v[46:47]
	v_fma_f64 v[22:23], v[22:23], v[40:41], v[115:116]
	v_fma_f64 v[40:41], v[40:41], v[105:106], -v[42:43]
	s_waitcnt vmcnt(5)
	v_mul_f64 v[42:43], v[24:25], v[52:53]
	v_mul_f64 v[24:25], v[24:25], v[54:55]
	s_waitcnt vmcnt(4)
	v_mul_f64 v[46:47], v[16:17], v[56:57]
	v_mul_f64 v[16:17], v[16:17], v[58:59]
	;; [unrolled: 3-line block ×4, first 2 shown]
	s_waitcnt vmcnt(1)
	v_mul_f64 v[105:106], v[8:9], v[68:69]
	v_fma_f64 v[10:11], v[10:11], v[44:45], v[30:31]
	v_mul_f64 v[30:31], v[8:9], v[70:71]
	s_waitcnt vmcnt(0)
	v_mul_f64 v[8:9], v[4:5], v[76:77]
	v_fma_f64 v[6:7], v[6:7], v[36:37], v[113:114]
	v_mul_f64 v[111:112], v[4:5], v[78:79]
	s_waitcnt lgkmcnt(0)
	v_fma_f64 v[4:5], v[109:110], v[50:51], v[86:87]
	v_fma_f64 v[14:15], v[109:110], v[48:49], -v[14:15]
	v_fma_f64 v[32:33], v[44:45], v[101:102], -v[32:33]
	;; [unrolled: 1-line block ×3, first 2 shown]
	v_fma_f64 v[38:39], v[91:92], v[58:59], v[46:47]
	v_fma_f64 v[42:43], v[84:85], v[54:55], v[42:43]
	;; [unrolled: 1-line block ×3, first 2 shown]
	v_fma_f64 v[52:53], v[84:85], v[52:53], -v[24:25]
	v_fma_f64 v[54:55], v[91:92], v[56:57], -v[16:17]
	;; [unrolled: 1-line block ×4, first 2 shown]
	v_add_f64 v[8:9], v[34:35], -v[26:27]
	v_add_f64 v[12:13], v[6:7], -v[10:11]
	;; [unrolled: 1-line block ×3, first 2 shown]
	v_add_f64 v[20:21], v[18:19], v[28:29]
	v_add_f64 v[24:25], v[14:15], v[40:41]
	;; [unrolled: 1-line block ×6, first 2 shown]
	v_add_f64 v[10:11], v[18:19], -v[28:29]
	v_add_f64 v[18:19], v[36:37], -v[32:33]
	;; [unrolled: 1-line block ×5, first 2 shown]
	v_add_f64 v[12:13], v[12:13], v[16:17]
	v_add_f64 v[36:37], v[20:21], v[24:25]
	;; [unrolled: 1-line block ×3, first 2 shown]
	v_fma_f64 v[46:47], v[99:100], v[70:71], v[105:106]
	v_fma_f64 v[48:49], v[107:108], v[66:67], v[93:94]
	v_fma_f64 v[50:51], v[103:104], v[62:63], v[88:89]
	v_add_f64 v[40:41], v[20:21], -v[60:61]
	v_add_f64 v[62:63], v[60:61], -v[24:25]
	;; [unrolled: 1-line block ×6, first 2 shown]
	v_add_f64 v[18:19], v[18:19], v[14:15]
	v_add_f64 v[16:17], v[16:17], -v[8:9]
	v_add_f64 v[14:15], v[14:15], -v[10:11]
	v_add_f64 v[8:9], v[8:9], v[12:13]
	v_add_f64 v[12:13], v[60:61], v[36:37]
	;; [unrolled: 1-line block ×3, first 2 shown]
	v_add_f64 v[20:21], v[24:25], -v[20:21]
	v_add_f64 v[24:25], v[4:5], -v[26:27]
	v_mul_f64 v[26:27], v[34:35], s[12:13]
	v_mul_f64 v[34:35], v[40:41], s[6:7]
	;; [unrolled: 1-line block ×6, first 2 shown]
	v_add_f64 v[10:11], v[10:11], v[18:19]
	v_mul_f64 v[18:19], v[16:17], s[4:5]
	v_mul_f64 v[70:71], v[14:15], s[4:5]
	v_add_f64 v[4:5], v[82:83], v[12:13]
	v_add_f64 v[2:3], v[2:3], v[6:7]
	v_fma_f64 v[84:85], v[22:23], s[24:25], v[26:27]
	v_fma_f64 v[66:67], v[66:67], s[6:7], v[62:63]
	;; [unrolled: 1-line block ×3, first 2 shown]
	v_fma_f64 v[16:17], v[16:17], s[4:5], -v[26:27]
	v_fma_f64 v[18:19], v[22:23], s[22:23], -v[18:19]
	;; [unrolled: 1-line block ×6, first 2 shown]
	v_fma_f64 v[12:13], v[12:13], s[14:15], v[4:5]
	v_fma_f64 v[6:7], v[6:7], s[14:15], v[2:3]
	v_fma_f64 v[24:25], v[24:25], s[16:17], -v[62:63]
	v_fma_f64 v[14:15], v[14:15], s[4:5], -v[64:65]
	v_add_f64 v[70:71], v[54:55], v[52:53]
	v_add_f64 v[78:79], v[58:59], v[56:57]
	v_fma_f64 v[30:31], v[99:100], v[68:69], -v[30:31]
	v_fma_f64 v[68:69], v[95:96], v[76:77], -v[111:112]
	v_fma_f64 v[40:41], v[40:41], s[6:7], v[36:37]
	v_fma_f64 v[36:37], v[8:9], s[20:21], v[84:85]
	;; [unrolled: 1-line block ×4, first 2 shown]
	v_add_f64 v[64:65], v[66:67], v[6:7]
	v_fma_f64 v[18:19], v[8:9], s[20:21], v[16:17]
	v_fma_f64 v[66:67], v[10:11], s[20:21], v[14:15]
	v_add_f64 v[22:23], v[22:23], v[12:13]
	v_add_f64 v[34:35], v[34:35], v[6:7]
	;; [unrolled: 1-line block ×4, first 2 shown]
	v_add_f64 v[76:77], v[38:39], -v[42:43]
	v_add_f64 v[84:85], v[70:71], v[78:79]
	v_add_f64 v[86:87], v[68:69], v[30:31]
	;; [unrolled: 1-line block ×4, first 2 shown]
	v_add_f64 v[28:29], v[44:45], -v[46:47]
	v_add_f64 v[32:33], v[48:49], -v[50:51]
	v_fma_f64 v[62:63], v[10:11], s[20:21], v[82:83]
	v_add_f64 v[40:41], v[40:41], v[12:13]
	v_add_f64 v[12:13], v[26:27], v[22:23]
	v_add_f64 v[10:11], v[34:35], -v[60:61]
	v_add_f64 v[16:17], v[20:21], -v[18:19]
	v_add_f64 v[14:15], v[66:67], v[24:25]
	v_add_f64 v[20:21], v[18:19], v[20:21]
	v_add_f64 v[18:19], v[24:25], -v[66:67]
	v_add_f64 v[24:25], v[22:23], -v[26:27]
	v_add_f64 v[26:27], v[86:87], v[84:85]
	v_add_f64 v[22:23], v[60:61], v[34:35]
	;; [unrolled: 1-line block ×4, first 2 shown]
	v_add_f64 v[82:83], v[28:29], -v[32:33]
	v_add_f64 v[48:49], v[76:77], -v[28:29]
	v_add_f64 v[46:47], v[28:29], v[32:33]
	v_add_f64 v[30:31], v[68:69], -v[30:31]
	v_add_f64 v[56:57], v[58:59], -v[56:57]
	v_add_f64 v[28:29], v[80:81], v[26:27]
	v_add_f64 v[52:53], v[54:55], -v[52:53]
	v_add_f64 v[34:35], v[44:45], v[34:35]
	v_add_f64 v[68:69], v[44:45], -v[42:43]
	v_add_f64 v[58:59], v[70:71], -v[86:87]
	;; [unrolled: 1-line block ×5, first 2 shown]
	v_fma_f64 v[80:81], v[26:27], s[14:15], v[28:29]
	v_mul_f64 v[50:51], v[82:83], s[12:13]
	v_add_f64 v[26:27], v[0:1], v[34:35]
	v_add_f64 v[0:1], v[38:39], -v[44:45]
	v_mul_f64 v[44:45], v[68:69], s[10:11]
	v_add_f64 v[68:69], v[52:53], -v[30:31]
	v_add_f64 v[30:31], v[30:31], v[56:57]
	v_add_f64 v[56:57], v[56:57], -v[52:53]
	v_add_f64 v[46:47], v[76:77], v[46:47]
	v_mul_f64 v[82:83], v[58:59], s[6:7]
	v_mul_f64 v[66:67], v[66:67], s[10:11]
	;; [unrolled: 1-line block ×4, first 2 shown]
	v_add_f64 v[70:71], v[78:79], -v[70:71]
	v_add_f64 v[30:31], v[52:53], v[30:31]
	v_mul_f64 v[52:53], v[32:33], s[4:5]
	v_add_f64 v[38:39], v[42:43], -v[38:39]
	v_mul_f64 v[42:43], v[56:57], s[4:5]
	v_fma_f64 v[60:61], v[48:49], s[24:25], v[50:51]
	v_fma_f64 v[58:59], v[58:59], s[6:7], v[66:67]
	;; [unrolled: 1-line block ×5, first 2 shown]
	v_fma_f64 v[48:49], v[48:49], s[22:23], -v[52:53]
	v_fma_f64 v[52:53], v[70:71], s[18:19], -v[82:83]
	;; [unrolled: 1-line block ×8, first 2 shown]
	v_fma_f64 v[60:61], v[46:47], s[20:21], v[60:61]
	v_add_f64 v[58:59], v[58:59], v[80:81]
	v_add_f64 v[0:1], v[0:1], v[34:35]
	v_fma_f64 v[78:79], v[30:31], s[20:21], v[84:85]
	v_fma_f64 v[50:51], v[46:47], s[20:21], v[48:49]
	v_add_f64 v[52:53], v[52:53], v[80:81]
	v_add_f64 v[54:55], v[76:77], v[34:35]
	v_fma_f64 v[56:57], v[30:31], s[20:21], v[42:43]
	v_add_f64 v[48:49], v[66:67], v[80:81]
	v_fma_f64 v[46:47], v[46:47], s[20:21], v[32:33]
	;; [unrolled: 2-line block ×3, first 2 shown]
	v_add_f64 v[8:9], v[36:37], v[40:41]
	v_add_f64 v[32:33], v[40:41], -v[36:37]
	v_add_f64 v[40:41], v[50:51], v[52:53]
	v_add_f64 v[38:39], v[54:55], -v[56:57]
	v_add_f64 v[52:53], v[52:53], -v[50:51]
	v_add_f64 v[50:51], v[56:57], v[54:55]
	v_add_f64 v[56:57], v[58:59], -v[60:61]
	v_add_f64 v[54:55], v[78:79], v[0:1]
	v_add_f64 v[36:37], v[60:61], v[58:59]
	v_add_f64 v[34:35], v[0:1], -v[78:79]
	v_mov_b32_e32 v0, s3
	v_add_co_u32_e32 v58, vcc, s2, v74
	v_add_f64 v[44:45], v[48:49], -v[46:47]
	v_add_f64 v[48:49], v[46:47], v[48:49]
	v_add_f64 v[46:47], v[66:67], -v[68:69]
	v_addc_co_u32_e32 v59, vcc, v0, v75, vcc
	v_lshlrev_b64 v[0:1], 4, v[72:73]
	v_add_f64 v[42:43], v[68:69], v[66:67]
	v_add_co_u32_e32 v0, vcc, v58, v0
	v_addc_co_u32_e32 v1, vcc, v59, v1, vcc
	global_store_dwordx4 v[0:1], v[26:29], off
	global_store_dwordx4 v[0:1], v[54:57], off offset:4032
	v_add_co_u32_e32 v26, vcc, s0, v0
	v_addc_co_u32_e32 v27, vcc, 0, v1, vcc
	s_movk_i32 s0, 0x2000
	global_store_dwordx4 v[26:27], v[50:53], off offset:3968
	v_add_co_u32_e32 v26, vcc, s0, v0
	v_addc_co_u32_e32 v27, vcc, 0, v1, vcc
	global_store_dwordx4 v[26:27], v[46:49], off offset:3904
	v_add_co_u32_e32 v26, vcc, s1, v0
	v_addc_co_u32_e32 v27, vcc, 0, v1, vcc
	s_movk_i32 s2, 0x4000
	s_mov_b32 s4, 0x20820821
	global_store_dwordx4 v[26:27], v[42:45], off offset:3840
	v_add_co_u32_e32 v26, vcc, s2, v0
	v_mul_hi_u32 v28, v90, s4
	v_addc_co_u32_e32 v27, vcc, 0, v1, vcc
	s_movk_i32 s3, 0x5000
	global_store_dwordx4 v[26:27], v[38:41], off offset:3776
	v_add_co_u32_e32 v26, vcc, s3, v0
	v_addc_co_u32_e32 v27, vcc, 0, v1, vcc
	global_store_dwordx4 v[26:27], v[34:37], off offset:3712
	v_lshrrev_b32_e32 v26, 3, v28
	v_add_f64 v[30:31], v[62:63], v[64:65]
	v_mul_u32_u24_e32 v72, 0x5e8, v26
	v_lshlrev_b64 v[26:27], 4, v[72:73]
	v_add_f64 v[6:7], v[64:65], -v[62:63]
	v_add_co_u32_e32 v0, vcc, v0, v26
	v_addc_co_u32_e32 v1, vcc, v1, v27, vcc
	v_add_co_u32_e32 v26, vcc, s26, v0
	v_addc_co_u32_e32 v27, vcc, 0, v1, vcc
	global_store_dwordx4 v[0:1], v[2:5], off offset:2016
	global_store_dwordx4 v[26:27], v[30:33], off offset:4032
	v_add_co_u32_e32 v2, vcc, s0, v0
	v_addc_co_u32_e32 v3, vcc, 0, v1, vcc
	global_store_dwordx4 v[2:3], v[22:25], off offset:1888
	v_add_co_u32_e32 v2, vcc, s1, v0
	v_addc_co_u32_e32 v3, vcc, 0, v1, vcc
	;; [unrolled: 3-line block ×4, first 2 shown]
	v_add_co_u32_e32 v0, vcc, 0x6000, v0
	v_addc_co_u32_e32 v1, vcc, 0, v1, vcc
	global_store_dwordx4 v[2:3], v[10:13], off offset:1696
	global_store_dwordx4 v[0:1], v[6:9], off offset:1632
.LBB0_29:
	s_endpgm
	.section	.rodata,"a",@progbits
	.p2align	6, 0x0
	.amdhsa_kernel fft_rtc_back_len1764_factors_2_2_3_3_7_7_wgs_126_tpt_126_halfLds_dp_ip_CI_unitstride_sbrr_dirReg
		.amdhsa_group_segment_fixed_size 0
		.amdhsa_private_segment_fixed_size 0
		.amdhsa_kernarg_size 88
		.amdhsa_user_sgpr_count 6
		.amdhsa_user_sgpr_private_segment_buffer 1
		.amdhsa_user_sgpr_dispatch_ptr 0
		.amdhsa_user_sgpr_queue_ptr 0
		.amdhsa_user_sgpr_kernarg_segment_ptr 1
		.amdhsa_user_sgpr_dispatch_id 0
		.amdhsa_user_sgpr_flat_scratch_init 0
		.amdhsa_user_sgpr_private_segment_size 0
		.amdhsa_uses_dynamic_stack 0
		.amdhsa_system_sgpr_private_segment_wavefront_offset 0
		.amdhsa_system_sgpr_workgroup_id_x 1
		.amdhsa_system_sgpr_workgroup_id_y 0
		.amdhsa_system_sgpr_workgroup_id_z 0
		.amdhsa_system_sgpr_workgroup_info 0
		.amdhsa_system_vgpr_workitem_id 0
		.amdhsa_next_free_vgpr 136
		.amdhsa_next_free_sgpr 30
		.amdhsa_reserve_vcc 1
		.amdhsa_reserve_flat_scratch 0
		.amdhsa_float_round_mode_32 0
		.amdhsa_float_round_mode_16_64 0
		.amdhsa_float_denorm_mode_32 3
		.amdhsa_float_denorm_mode_16_64 3
		.amdhsa_dx10_clamp 1
		.amdhsa_ieee_mode 1
		.amdhsa_fp16_overflow 0
		.amdhsa_exception_fp_ieee_invalid_op 0
		.amdhsa_exception_fp_denorm_src 0
		.amdhsa_exception_fp_ieee_div_zero 0
		.amdhsa_exception_fp_ieee_overflow 0
		.amdhsa_exception_fp_ieee_underflow 0
		.amdhsa_exception_fp_ieee_inexact 0
		.amdhsa_exception_int_div_zero 0
	.end_amdhsa_kernel
	.text
.Lfunc_end0:
	.size	fft_rtc_back_len1764_factors_2_2_3_3_7_7_wgs_126_tpt_126_halfLds_dp_ip_CI_unitstride_sbrr_dirReg, .Lfunc_end0-fft_rtc_back_len1764_factors_2_2_3_3_7_7_wgs_126_tpt_126_halfLds_dp_ip_CI_unitstride_sbrr_dirReg
                                        ; -- End function
	.section	.AMDGPU.csdata,"",@progbits
; Kernel info:
; codeLenInByte = 10740
; NumSgprs: 34
; NumVgprs: 136
; ScratchSize: 0
; MemoryBound: 1
; FloatMode: 240
; IeeeMode: 1
; LDSByteSize: 0 bytes/workgroup (compile time only)
; SGPRBlocks: 4
; VGPRBlocks: 33
; NumSGPRsForWavesPerEU: 34
; NumVGPRsForWavesPerEU: 136
; Occupancy: 1
; WaveLimiterHint : 1
; COMPUTE_PGM_RSRC2:SCRATCH_EN: 0
; COMPUTE_PGM_RSRC2:USER_SGPR: 6
; COMPUTE_PGM_RSRC2:TRAP_HANDLER: 0
; COMPUTE_PGM_RSRC2:TGID_X_EN: 1
; COMPUTE_PGM_RSRC2:TGID_Y_EN: 0
; COMPUTE_PGM_RSRC2:TGID_Z_EN: 0
; COMPUTE_PGM_RSRC2:TIDIG_COMP_CNT: 0
	.type	__hip_cuid_74c5021057f5a5ae,@object ; @__hip_cuid_74c5021057f5a5ae
	.section	.bss,"aw",@nobits
	.globl	__hip_cuid_74c5021057f5a5ae
__hip_cuid_74c5021057f5a5ae:
	.byte	0                               ; 0x0
	.size	__hip_cuid_74c5021057f5a5ae, 1

	.ident	"AMD clang version 19.0.0git (https://github.com/RadeonOpenCompute/llvm-project roc-6.4.0 25133 c7fe45cf4b819c5991fe208aaa96edf142730f1d)"
	.section	".note.GNU-stack","",@progbits
	.addrsig
	.addrsig_sym __hip_cuid_74c5021057f5a5ae
	.amdgpu_metadata
---
amdhsa.kernels:
  - .args:
      - .actual_access:  read_only
        .address_space:  global
        .offset:         0
        .size:           8
        .value_kind:     global_buffer
      - .offset:         8
        .size:           8
        .value_kind:     by_value
      - .actual_access:  read_only
        .address_space:  global
        .offset:         16
        .size:           8
        .value_kind:     global_buffer
      - .actual_access:  read_only
        .address_space:  global
        .offset:         24
        .size:           8
        .value_kind:     global_buffer
      - .offset:         32
        .size:           8
        .value_kind:     by_value
      - .actual_access:  read_only
        .address_space:  global
        .offset:         40
        .size:           8
        .value_kind:     global_buffer
      - .actual_access:  read_only
        .address_space:  global
        .offset:         48
        .size:           8
        .value_kind:     global_buffer
      - .offset:         56
        .size:           4
        .value_kind:     by_value
      - .actual_access:  read_only
        .address_space:  global
        .offset:         64
        .size:           8
        .value_kind:     global_buffer
      - .actual_access:  read_only
        .address_space:  global
        .offset:         72
        .size:           8
        .value_kind:     global_buffer
      - .address_space:  global
        .offset:         80
        .size:           8
        .value_kind:     global_buffer
    .group_segment_fixed_size: 0
    .kernarg_segment_align: 8
    .kernarg_segment_size: 88
    .language:       OpenCL C
    .language_version:
      - 2
      - 0
    .max_flat_workgroup_size: 126
    .name:           fft_rtc_back_len1764_factors_2_2_3_3_7_7_wgs_126_tpt_126_halfLds_dp_ip_CI_unitstride_sbrr_dirReg
    .private_segment_fixed_size: 0
    .sgpr_count:     34
    .sgpr_spill_count: 0
    .symbol:         fft_rtc_back_len1764_factors_2_2_3_3_7_7_wgs_126_tpt_126_halfLds_dp_ip_CI_unitstride_sbrr_dirReg.kd
    .uniform_work_group_size: 1
    .uses_dynamic_stack: false
    .vgpr_count:     136
    .vgpr_spill_count: 0
    .wavefront_size: 64
amdhsa.target:   amdgcn-amd-amdhsa--gfx906
amdhsa.version:
  - 1
  - 2
...

	.end_amdgpu_metadata
